;; amdgpu-corpus repo=ROCm/rocFFT kind=compiled arch=gfx950 opt=O3
	.text
	.amdgcn_target "amdgcn-amd-amdhsa--gfx950"
	.amdhsa_code_object_version 6
	.protected	fft_rtc_back_len1920_factors_10_6_16_2_wgs_240_tpt_120_halfLds_half_ip_CI_unitstride_sbrr_R2C_dirReg ; -- Begin function fft_rtc_back_len1920_factors_10_6_16_2_wgs_240_tpt_120_halfLds_half_ip_CI_unitstride_sbrr_R2C_dirReg
	.globl	fft_rtc_back_len1920_factors_10_6_16_2_wgs_240_tpt_120_halfLds_half_ip_CI_unitstride_sbrr_R2C_dirReg
	.p2align	8
	.type	fft_rtc_back_len1920_factors_10_6_16_2_wgs_240_tpt_120_halfLds_half_ip_CI_unitstride_sbrr_R2C_dirReg,@function
fft_rtc_back_len1920_factors_10_6_16_2_wgs_240_tpt_120_halfLds_half_ip_CI_unitstride_sbrr_R2C_dirReg: ; @fft_rtc_back_len1920_factors_10_6_16_2_wgs_240_tpt_120_halfLds_half_ip_CI_unitstride_sbrr_R2C_dirReg
; %bb.0:
	s_load_dwordx2 s[8:9], s[0:1], 0x50
	s_load_dwordx4 s[4:7], s[0:1], 0x0
	s_load_dwordx2 s[10:11], s[0:1], 0x18
	v_mul_u32_u24_e32 v1, 0x223, v0
	v_lshrrev_b32_e32 v1, 16, v1
	v_lshl_add_u32 v6, s2, 1, v1
	v_mov_b32_e32 v4, 0
	s_waitcnt lgkmcnt(0)
	v_cmp_lt_u64_e64 s[2:3], s[6:7], 2
	v_mov_b32_e32 v7, v4
	s_and_b64 vcc, exec, s[2:3]
	v_mov_b64_e32 v[2:3], 0
	s_cbranch_vccnz .LBB0_8
; %bb.1:
	s_load_dwordx2 s[2:3], s[0:1], 0x10
	s_add_u32 s12, s10, 8
	s_addc_u32 s13, s11, 0
	s_mov_b64 s[14:15], 1
	v_mov_b64_e32 v[2:3], 0
	s_waitcnt lgkmcnt(0)
	s_add_u32 s16, s2, 8
	s_addc_u32 s17, s3, 0
.LBB0_2:                                ; =>This Inner Loop Header: Depth=1
	s_load_dwordx2 s[18:19], s[16:17], 0x0
                                        ; implicit-def: $vgpr8_vgpr9
	s_waitcnt lgkmcnt(0)
	v_or_b32_e32 v5, s19, v7
	v_cmp_ne_u64_e32 vcc, 0, v[4:5]
	s_and_saveexec_b64 s[2:3], vcc
	s_xor_b64 s[20:21], exec, s[2:3]
	s_cbranch_execz .LBB0_4
; %bb.3:                                ;   in Loop: Header=BB0_2 Depth=1
	v_cvt_f32_u32_e32 v5, s18
	v_cvt_f32_u32_e32 v8, s19
	s_sub_u32 s2, 0, s18
	s_subb_u32 s3, 0, s19
	v_fmac_f32_e32 v5, 0x4f800000, v8
	v_rcp_f32_e32 v5, v5
	s_nop 0
	v_mul_f32_e32 v5, 0x5f7ffffc, v5
	v_mul_f32_e32 v8, 0x2f800000, v5
	v_trunc_f32_e32 v8, v8
	v_fmac_f32_e32 v5, 0xcf800000, v8
	v_cvt_u32_f32_e32 v12, v8
	v_cvt_u32_f32_e32 v5, v5
	v_mul_lo_u32 v8, s2, v12
	v_mul_hi_u32 v10, s2, v5
	v_mul_lo_u32 v9, s3, v5
	v_add_u32_e32 v10, v10, v8
	v_mul_lo_u32 v13, s2, v5
	v_add_u32_e32 v14, v10, v9
	v_mul_hi_u32 v8, v5, v13
	v_mul_hi_u32 v11, v5, v14
	v_mul_lo_u32 v10, v5, v14
	v_mov_b32_e32 v9, v4
	v_lshl_add_u64 v[8:9], v[8:9], 0, v[10:11]
	v_mul_hi_u32 v11, v12, v13
	v_mul_lo_u32 v13, v12, v13
	v_add_co_u32_e32 v8, vcc, v8, v13
	v_mul_hi_u32 v10, v12, v14
	s_nop 0
	v_addc_co_u32_e32 v8, vcc, v9, v11, vcc
	v_mov_b32_e32 v9, v4
	s_nop 0
	v_addc_co_u32_e32 v11, vcc, 0, v10, vcc
	v_mul_lo_u32 v10, v12, v14
	v_lshl_add_u64 v[8:9], v[8:9], 0, v[10:11]
	v_add_co_u32_e32 v5, vcc, v5, v8
	v_mul_lo_u32 v10, s2, v5
	s_nop 0
	v_addc_co_u32_e32 v12, vcc, v12, v9, vcc
	v_mul_lo_u32 v8, s2, v12
	v_mul_hi_u32 v9, s2, v5
	v_add_u32_e32 v8, v9, v8
	v_mul_lo_u32 v9, s3, v5
	v_add_u32_e32 v13, v8, v9
	v_mul_hi_u32 v15, v12, v10
	v_mul_lo_u32 v16, v12, v10
	v_mul_hi_u32 v9, v5, v13
	v_mul_lo_u32 v8, v5, v13
	v_mul_hi_u32 v10, v5, v10
	v_mov_b32_e32 v11, v4
	v_lshl_add_u64 v[8:9], v[10:11], 0, v[8:9]
	v_add_co_u32_e32 v8, vcc, v8, v16
	v_mul_hi_u32 v14, v12, v13
	s_nop 0
	v_addc_co_u32_e32 v8, vcc, v9, v15, vcc
	v_mul_lo_u32 v10, v12, v13
	s_nop 0
	v_addc_co_u32_e32 v11, vcc, 0, v14, vcc
	v_mov_b32_e32 v9, v4
	v_lshl_add_u64 v[8:9], v[8:9], 0, v[10:11]
	v_add_co_u32_e32 v5, vcc, v5, v8
	v_mul_hi_u32 v10, v6, v5
	s_nop 0
	v_addc_co_u32_e32 v12, vcc, v12, v9, vcc
	v_mad_u64_u32 v[8:9], s[2:3], v6, v12, 0
	v_mov_b32_e32 v11, v4
	v_lshl_add_u64 v[8:9], v[10:11], 0, v[8:9]
	v_mad_u64_u32 v[10:11], s[2:3], v7, v12, 0
	v_mad_u64_u32 v[12:13], s[2:3], v7, v5, 0
	v_add_co_u32_e32 v5, vcc, v8, v12
	s_nop 1
	v_addc_co_u32_e32 v8, vcc, v9, v13, vcc
	v_mov_b32_e32 v9, v4
	s_nop 0
	v_addc_co_u32_e32 v11, vcc, 0, v11, vcc
	v_lshl_add_u64 v[8:9], v[8:9], 0, v[10:11]
	v_mul_lo_u32 v5, s19, v8
	v_mul_lo_u32 v12, s18, v9
	v_mad_u64_u32 v[10:11], s[2:3], s18, v8, 0
	v_add3_u32 v5, v11, v12, v5
	v_sub_u32_e32 v11, v7, v5
	v_mov_b32_e32 v12, s19
	v_sub_co_u32_e32 v14, vcc, v6, v10
	s_nop 1
	v_subb_co_u32_e64 v10, s[2:3], v11, v12, vcc
	v_subrev_co_u32_e64 v11, s[2:3], s18, v14
	v_subb_co_u32_e32 v5, vcc, v7, v5, vcc
	s_nop 0
	v_subbrev_co_u32_e64 v10, s[2:3], 0, v10, s[2:3]
	v_cmp_le_u32_e64 s[2:3], s19, v10
	v_cmp_le_u32_e32 vcc, s19, v5
	s_nop 0
	v_cndmask_b32_e64 v12, 0, -1, s[2:3]
	v_cmp_le_u32_e64 s[2:3], s18, v11
	s_nop 1
	v_cndmask_b32_e64 v11, 0, -1, s[2:3]
	v_cmp_eq_u32_e64 s[2:3], s19, v10
	s_nop 1
	v_cndmask_b32_e64 v15, v12, v11, s[2:3]
	v_lshl_add_u64 v[10:11], v[8:9], 0, 2
	v_lshl_add_u64 v[12:13], v[8:9], 0, 1
	v_cmp_ne_u32_e64 s[2:3], 0, v15
	s_nop 1
	v_cndmask_b32_e64 v11, v13, v11, s[2:3]
	v_cndmask_b32_e64 v13, 0, -1, vcc
	v_cmp_le_u32_e32 vcc, s18, v14
	s_nop 1
	v_cndmask_b32_e64 v14, 0, -1, vcc
	v_cmp_eq_u32_e32 vcc, s19, v5
	s_nop 1
	v_cndmask_b32_e32 v5, v13, v14, vcc
	v_cmp_ne_u32_e32 vcc, 0, v5
	v_cndmask_b32_e64 v5, v12, v10, s[2:3]
	s_nop 0
	v_cndmask_b32_e32 v9, v9, v11, vcc
	v_cndmask_b32_e32 v8, v8, v5, vcc
.LBB0_4:                                ;   in Loop: Header=BB0_2 Depth=1
	s_andn2_saveexec_b64 s[2:3], s[20:21]
	s_cbranch_execz .LBB0_6
; %bb.5:                                ;   in Loop: Header=BB0_2 Depth=1
	v_cvt_f32_u32_e32 v5, s18
	s_sub_i32 s20, 0, s18
	v_rcp_iflag_f32_e32 v5, v5
	s_nop 0
	v_mul_f32_e32 v5, 0x4f7ffffe, v5
	v_cvt_u32_f32_e32 v5, v5
	v_mul_lo_u32 v8, s20, v5
	v_mul_hi_u32 v8, v5, v8
	v_add_u32_e32 v5, v5, v8
	v_mul_hi_u32 v5, v6, v5
	v_mul_lo_u32 v8, v5, s18
	v_sub_u32_e32 v8, v6, v8
	v_add_u32_e32 v9, 1, v5
	v_subrev_u32_e32 v10, s18, v8
	v_cmp_le_u32_e32 vcc, s18, v8
	s_nop 1
	v_cndmask_b32_e32 v8, v8, v10, vcc
	v_cndmask_b32_e32 v5, v5, v9, vcc
	v_add_u32_e32 v9, 1, v5
	v_cmp_le_u32_e32 vcc, s18, v8
	s_nop 1
	v_cndmask_b32_e32 v8, v5, v9, vcc
	v_mov_b32_e32 v9, v4
.LBB0_6:                                ;   in Loop: Header=BB0_2 Depth=1
	s_or_b64 exec, exec, s[2:3]
	v_mad_u64_u32 v[10:11], s[2:3], v8, s18, 0
	s_load_dwordx2 s[2:3], s[12:13], 0x0
	v_mul_lo_u32 v5, v9, s18
	v_mul_lo_u32 v12, v8, s19
	v_add3_u32 v5, v11, v12, v5
	v_sub_co_u32_e32 v6, vcc, v6, v10
	s_add_u32 s14, s14, 1
	s_nop 0
	v_subb_co_u32_e32 v5, vcc, v7, v5, vcc
	s_addc_u32 s15, s15, 0
	s_waitcnt lgkmcnt(0)
	v_mul_lo_u32 v5, s2, v5
	v_mul_lo_u32 v7, s3, v6
	v_mad_u64_u32 v[2:3], s[2:3], s2, v6, v[2:3]
	s_add_u32 s12, s12, 8
	v_add3_u32 v3, v7, v3, v5
	s_addc_u32 s13, s13, 0
	v_mov_b64_e32 v[6:7], s[6:7]
	s_add_u32 s16, s16, 8
	v_cmp_ge_u64_e32 vcc, s[14:15], v[6:7]
	s_addc_u32 s17, s17, 0
	s_cbranch_vccnz .LBB0_9
; %bb.7:                                ;   in Loop: Header=BB0_2 Depth=1
	v_mov_b64_e32 v[6:7], v[8:9]
	s_branch .LBB0_2
.LBB0_8:
	v_mov_b64_e32 v[8:9], v[6:7]
.LBB0_9:
	s_lshl_b64 s[2:3], s[6:7], 3
	s_add_u32 s2, s10, s2
	s_addc_u32 s3, s11, s3
	s_load_dwordx2 s[6:7], s[2:3], 0x0
	s_load_dwordx2 s[10:11], s[0:1], 0x20
	v_and_b32_e32 v1, 1, v1
	s_waitcnt lgkmcnt(0)
	v_mul_lo_u32 v4, s6, v9
	v_mul_lo_u32 v5, s7, v8
	v_mad_u64_u32 v[2:3], s[0:1], s6, v8, v[2:3]
	s_mov_b32 s6, 0x2222223
	v_add3_u32 v3, v5, v3, v4
	v_mul_hi_u32 v4, v0, s6
	v_mul_u32_u24_e32 v4, 0x78, v4
	v_cmp_eq_u32_e64 s[0:1], 1, v1
	v_mov_b32_e32 v1, 0x781
	v_cmp_gt_u64_e32 vcc, s[10:11], v[8:9]
	v_cmp_le_u64_e64 s[2:3], s[10:11], v[8:9]
	v_sub_u32_e32 v0, v0, v4
                                        ; implicit-def: $vgpr4
	s_and_saveexec_b64 s[6:7], s[2:3]
	s_xor_b64 s[2:3], exec, s[6:7]
; %bb.10:
	v_add_u32_e32 v4, 0x78, v0
; %bb.11:
	s_or_saveexec_b64 s[2:3], s[2:3]
	v_cndmask_b32_e64 v1, 0, v1, s[0:1]
	v_lshl_add_u64 v[2:3], v[2:3], 2, s[8:9]
	v_lshlrev_b32_e32 v5, 2, v1
	v_lshlrev_b32_e32 v32, 2, v0
	s_xor_b64 exec, exec, s[2:3]
	s_cbranch_execz .LBB0_13
; %bb.12:
	v_mov_b32_e32 v1, 0
	v_lshl_add_u64 v[6:7], v[0:1], 2, v[2:3]
	s_movk_i32 s0, 0x1000
	v_add_co_u32_e64 v8, s[0:1], s0, v6
	global_load_dword v1, v[6:7], off
	global_load_dword v10, v[6:7], off offset:480
	global_load_dword v11, v[6:7], off offset:960
	;; [unrolled: 1-line block ×7, first 2 shown]
	v_addc_co_u32_e64 v9, s[0:1], 0, v7, s[0:1]
	global_load_dword v17, v[6:7], off offset:3840
	global_load_dword v18, v[8:9], off offset:224
	;; [unrolled: 1-line block ×8, first 2 shown]
	v_add3_u32 v6, 0, v5, v32
	v_add_u32_e32 v4, 0x78, v0
	v_add_u32_e32 v7, 0x200, v6
	v_add_u32_e32 v8, 0x600, v6
	v_add_u32_e32 v9, 0xa00, v6
	v_add_u32_e32 v25, 0xe00, v6
	v_add_u32_e32 v26, 0x1200, v6
	v_add_u32_e32 v27, 0x1600, v6
	v_add_u32_e32 v28, 0x1a00, v6
	s_waitcnt vmcnt(14)
	ds_write2_b32 v6, v1, v10 offset1:120
	s_waitcnt vmcnt(12)
	ds_write2_b32 v7, v11, v12 offset0:112 offset1:232
	s_waitcnt vmcnt(10)
	ds_write2_b32 v8, v13, v14 offset0:96 offset1:216
	;; [unrolled: 2-line block ×7, first 2 shown]
.LBB0_13:
	s_or_b64 exec, exec, s[2:3]
	v_add_u32_e32 v1, 0, v32
	v_add_u32_e32 v33, v1, v5
	;; [unrolled: 1-line block ×3, first 2 shown]
	s_waitcnt lgkmcnt(0)
	s_barrier
	ds_read2_b32 v[12:13], v1 offset0:120 offset1:192
	v_add_u32_e32 v1, 0xa00, v33
	ds_read2_b32 v[24:25], v1 offset0:56 offset1:128
	v_add_u32_e32 v1, 0xc00, v33
	;; [unrolled: 2-line block ×4, first 2 shown]
	v_add_u32_e32 v1, 0x1200, v33
	ds_read2_b32 v[16:17], v35 offset0:120 offset1:192
	ds_read2_b32 v[20:21], v1 offset0:120 offset1:192
	;; [unrolled: 1-line block ×3, first 2 shown]
	s_waitcnt lgkmcnt(4)
	v_pk_add_f16 v6, v14, v12 neg_lo:[0,1] neg_hi:[0,1]
	v_add_u32_e32 v1, 0x1600, v33
	ds_read2_b32 v[28:29], v1 offset0:56 offset1:128
	s_waitcnt lgkmcnt(2)
	v_pk_add_f16 v7, v20, v16 neg_lo:[0,1] neg_hi:[0,1]
	v_add_f16_e32 v1, v12, v16
	v_pk_add_f16 v6, v6, v7
	s_waitcnt lgkmcnt(1)
	v_pk_add_f16 v7, v18, v12
	v_pk_add_f16 v11, v14, v20 neg_lo:[0,1] neg_hi:[0,1]
	v_pk_add_f16 v7, v7, v14
	v_fma_f16 v1, v1, -0.5, v18
	v_pk_add_f16 v7, v7, v20
	v_pk_add_f16 v8, v12, v16 neg_lo:[0,1] neg_hi:[0,1]
	v_pk_add_f16 v36, v7, v16
	v_pk_add_f16 v7, v14, v20
	v_pk_add_f16 v14, v12, v14 neg_lo:[0,1] neg_hi:[0,1]
	v_pk_add_f16 v20, v16, v20 neg_lo:[0,1] neg_hi:[0,1]
	s_movk_i32 s0, 0x3b9c
	v_pk_add_f16 v37, v14, v20
	v_lshrrev_b32_e32 v20, 16, v11
	s_mov_b32 s6, 0xbb9c
	s_movk_i32 s1, 0x38b4
	v_fma_f16 v40, v20, s0, v1
	v_lshrrev_b32_e32 v41, 16, v8
	v_fma_f16 v1, v20, s6, v1
	v_pk_fma_f16 v7, v7, -0.5, v18 op_sel_hi:[1,0,1]
	v_pk_mul_f16 v9, v8, s0 op_sel_hi:[1,0]
	s_movk_i32 s2, 0x34f2
	v_fma_f16 v1, v41, s1, v1
	v_pk_add_f16 v10, v7, v9 op_sel:[0,1] op_sel_hi:[1,0]
	v_pk_mul_f16 v38, v11, s1 op_sel_hi:[1,0]
	v_fma_f16 v20, v6, s2, v1
	v_pk_add_f16 v1, v7, v9 op_sel:[0,1] op_sel_hi:[1,0] neg_lo:[0,1] neg_hi:[0,1]
	v_pk_add_f16 v10, v38, v10 op_sel:[1,0] op_sel_hi:[0,1]
	v_pk_add_f16 v7, v1, v38 op_sel:[0,1] op_sel_hi:[1,0] neg_lo:[0,1] neg_hi:[0,1]
	s_mov_b32 s7, 0xffff
	v_pk_mul_f16 v39, v37, s2 op_sel_hi:[1,0]
	v_bfi_b32 v7, s7, v7, v10
	v_sub_f16_sdwa v1, v1, v38 dst_sel:DWORD dst_unused:UNUSED_PAD src0_sel:WORD_1 src1_sel:DWORD
	v_pk_fma_f16 v37, v37, s2, v7 op_sel_hi:[1,0,1]
	v_add_f16_sdwa v38, v39, v1 dst_sel:DWORD dst_unused:UNUSED_PAD src0_sel:WORD_1 src1_sel:DWORD
	v_add_f16_sdwa v1, v12, v16 dst_sel:DWORD dst_unused:UNUSED_PAD src0_sel:WORD_1 src1_sel:WORD_1
	v_lshrrev_b32_e32 v7, 16, v18
	s_mov_b32 s3, 0xb8b4
	v_fma_f16 v1, v1, -0.5, v7
	v_fma_f16 v40, v41, s3, v40
	v_fma_f16 v7, v11, s6, v1
	v_add_u32_e32 v34, 0x400, v33
	v_fma_f16 v43, v6, s2, v40
	v_fma_f16 v7, v8, s1, v7
	v_lshrrev_b32_e32 v6, 16, v6
	ds_read2_b32 v[22:23], v34 offset0:56 offset1:128
	v_fma_f16 v9, v6, s2, v7
	ds_read_b32 v7, v33 offset:7392
	v_fma_f16 v1, v11, s0, v1
	v_add_u32_e32 v31, 0, v5
	v_fma_f16 v1, v8, s3, v1
	v_add_u32_e32 v30, v31, v32
	ds_read_b32 v44, v30
	v_fma_f16 v12, v6, s2, v1
	s_waitcnt lgkmcnt(3)
	v_add_f16_e32 v1, v26, v28
	s_waitcnt lgkmcnt(2)
	v_fma_f16 v1, v1, -0.5, v22
	s_waitcnt lgkmcnt(1)
	v_sub_f16_sdwa v6, v24, v7 dst_sel:DWORD dst_unused:UNUSED_PAD src0_sel:WORD_1 src1_sel:WORD_1
	v_add_f16_e32 v14, v39, v10
	v_fma_f16 v8, v6, s6, v1
	v_sub_f16_sdwa v10, v26, v28 dst_sel:DWORD dst_unused:UNUSED_PAD src0_sel:WORD_1 src1_sel:WORD_1
	v_sub_f16_e32 v11, v7, v28
	v_sub_f16_e32 v16, v24, v26
	v_fma_f16 v1, v6, s0, v1
	v_fma_f16 v8, v10, s3, v8
	v_add_f16_e32 v11, v16, v11
	v_fma_f16 v1, v10, s1, v1
	v_fma_f16 v39, v11, s2, v8
	;; [unrolled: 1-line block ×3, first 2 shown]
	v_add_f16_e32 v1, v24, v7
	v_fma_f16 v1, v1, -0.5, v22
	v_fma_f16 v8, v10, s0, v1
	v_sub_f16_e32 v16, v28, v7
	v_sub_f16_e32 v18, v26, v24
	v_fma_f16 v1, v10, s6, v1
	v_add_f16_e32 v16, v18, v16
	v_fma_f16 v1, v6, s1, v1
	v_fma_f16 v10, v16, s2, v1
	v_pk_add_f16 v1, v22, v24
	v_fma_f16 v8, v6, s3, v8
	v_pk_add_f16 v1, v1, v26
	;; [unrolled: 2-line block ×3, first 2 shown]
	v_lshrrev_b32_e32 v6, 16, v22
	v_pk_add_f16 v16, v1, v7
	v_add_f16_sdwa v1, v26, v28 dst_sel:DWORD dst_unused:UNUSED_PAD src0_sel:WORD_1 src1_sel:WORD_1
	v_fma_f16 v1, v1, -0.5, v6
	v_sub_f16_e32 v8, v24, v7
	v_fma_f16 v18, v8, s0, v1
	v_sub_f16_e32 v22, v26, v28
	v_sub_f16_sdwa v40, v24, v26 dst_sel:DWORD dst_unused:UNUSED_PAD src0_sel:WORD_1 src1_sel:WORD_1
	v_sub_f16_sdwa v42, v7, v28 dst_sel:DWORD dst_unused:UNUSED_PAD src0_sel:WORD_1 src1_sel:WORD_1
	v_fma_f16 v1, v8, s6, v1
	v_add_f16_e32 v40, v40, v42
	v_fma_f16 v1, v22, s3, v1
	v_fma_f16 v45, v40, s2, v1
	v_add_f16_sdwa v1, v24, v7 dst_sel:DWORD dst_unused:UNUSED_PAD src0_sel:WORD_1 src1_sel:WORD_1
	v_fma_f16 v18, v22, s1, v18
	v_fma_f16 v1, v1, -0.5, v6
	v_fma_f16 v42, v40, s2, v18
	v_fma_f16 v6, v22, s6, v1
	v_sub_f16_sdwa v18, v26, v24 dst_sel:DWORD dst_unused:UNUSED_PAD src0_sel:WORD_1 src1_sel:WORD_1
	v_sub_f16_sdwa v7, v28, v7 dst_sel:DWORD dst_unused:UNUSED_PAD src0_sel:WORD_1 src1_sel:WORD_1
	v_fma_f16 v1, v22, s0, v1
	v_fma_f16 v6, v8, s1, v6
	v_add_f16_e32 v7, v18, v7
	v_fma_f16 v1, v8, s3, v1
	v_fma_f16 v24, v7, s2, v6
	;; [unrolled: 1-line block ×3, first 2 shown]
	v_mul_f16_e32 v1, 0xb8b4, v42
	s_movk_i32 s7, 0x3a79
	v_fma_f16 v18, v39, s7, v1
	v_mul_f16_e32 v1, 0xbb9c, v24
	v_fma_f16 v46, v41, s2, v1
	v_mul_f16_e32 v1, 0xbb9c, v26
	s_mov_b32 s8, 0xb4f2
	v_fma_f16 v22, v10, s8, v1
	v_mul_f16_e32 v1, 0xb8b4, v45
	s_mov_b32 s9, 0xba79
	v_fma_f16 v40, v11, s9, v1
	v_mul_f16_e32 v1, 0x38b4, v39
	v_fma_f16 v39, v42, s7, v1
	v_mul_f16_e32 v1, 0x34f2, v24
	;; [unrolled: 2-line block ×3, first 2 shown]
	v_add_f16_e32 v1, v9, v28
	v_fma_f16 v41, v10, s0, v24
	v_mul_f16_e32 v10, 0xba79, v45
	v_sub_f16_e32 v26, v9, v28
	v_add_f16_e32 v9, v25, v27
	v_fma_f16 v42, v11, s1, v10
	s_waitcnt lgkmcnt(0)
	v_fma_f16 v9, v9, -0.5, v44
	v_sub_f16_sdwa v10, v23, v29 dst_sel:DWORD dst_unused:UNUSED_PAD src0_sel:WORD_1 src1_sel:WORD_1
	v_fma_f16 v11, v10, s6, v9
	v_sub_f16_sdwa v28, v25, v27 dst_sel:DWORD dst_unused:UNUSED_PAD src0_sel:WORD_1 src1_sel:WORD_1
	v_sub_f16_e32 v45, v29, v27
	v_sub_f16_e32 v47, v23, v25
	v_fma_f16 v9, v10, s0, v9
	v_fma_f16 v11, v28, s3, v11
	v_add_f16_e32 v45, v47, v45
	v_fma_f16 v9, v28, s1, v9
	v_fma_f16 v47, v45, s2, v11
	;; [unrolled: 1-line block ×3, first 2 shown]
	v_add_f16_e32 v9, v23, v29
	v_fma_f16 v9, v9, -0.5, v44
	v_fma_f16 v11, v28, s0, v9
	v_sub_f16_e32 v48, v27, v29
	v_sub_f16_e32 v49, v25, v23
	v_fma_f16 v9, v28, s6, v9
	v_fma_f16 v11, v10, s3, v11
	v_add_f16_e32 v48, v49, v48
	v_fma_f16 v9, v10, s1, v9
	v_fma_f16 v49, v48, s2, v11
	;; [unrolled: 1-line block ×3, first 2 shown]
	v_add_f16_sdwa v9, v25, v27 dst_sel:DWORD dst_unused:UNUSED_PAD src0_sel:WORD_1 src1_sel:WORD_1
	v_lshrrev_b32_e32 v10, 16, v44
	v_fma_f16 v9, v9, -0.5, v10
	v_sub_f16_e32 v50, v23, v29
	v_sub_f16_sdwa v28, v23, v25 dst_sel:DWORD dst_unused:UNUSED_PAD src0_sel:WORD_1 src1_sel:WORD_1
	v_sub_f16_sdwa v51, v29, v27 dst_sel:DWORD dst_unused:UNUSED_PAD src0_sel:WORD_1 src1_sel:WORD_1
	v_fma_f16 v11, v50, s0, v9
	v_add_f16_e32 v28, v28, v51
	v_sub_f16_e32 v51, v25, v27
	v_fma_f16 v11, v51, s1, v11
	v_fma_f16 v9, v50, s6, v9
	v_add_f16_e32 v6, v43, v46
	v_fma_f16 v52, v28, s2, v11
	v_fma_f16 v9, v51, s3, v9
	v_sub_f16_e32 v11, v43, v46
	v_pk_add_f16 v43, v44, v23
	v_fma_f16 v53, v28, s2, v9
	v_add_f16_sdwa v9, v23, v29 dst_sel:DWORD dst_unused:UNUSED_PAD src0_sel:WORD_1 src1_sel:WORD_1
	v_pk_add_f16 v43, v43, v25
	v_fma_f16 v54, v9, -0.5, v10
	v_pk_add_f16 v43, v43, v27
	v_sub_f16_sdwa v23, v25, v23 dst_sel:DWORD dst_unused:UNUSED_PAD src0_sel:WORD_1 src1_sel:WORD_1
	v_sub_f16_sdwa v27, v27, v29 dst_sel:DWORD dst_unused:UNUSED_PAD src0_sel:WORD_1 src1_sel:WORD_1
	v_fma_f16 v25, v51, s6, v54
	v_add_f16_e32 v23, v23, v27
	v_fma_f16 v27, v51, s0, v54
	v_fma_f16 v25, v50, s1, v25
	;; [unrolled: 1-line block ×5, first 2 shown]
	v_add_f16_e32 v23, v15, v21
	v_pk_add_f16 v43, v43, v29
	v_fma_f16 v23, v23, -0.5, v19
	v_sub_f16_sdwa v29, v13, v17 dst_sel:DWORD dst_unused:UNUSED_PAD src0_sel:WORD_1 src1_sel:WORD_1
	v_fma_f16 v44, v29, s6, v23
	v_sub_f16_sdwa v46, v15, v21 dst_sel:DWORD dst_unused:UNUSED_PAD src0_sel:WORD_1 src1_sel:WORD_1
	v_sub_f16_e32 v50, v17, v21
	v_sub_f16_e32 v51, v13, v15
	v_fma_f16 v23, v29, s0, v23
	v_fma_f16 v44, v46, s3, v44
	v_add_f16_e32 v50, v51, v50
	v_fma_f16 v23, v46, s1, v23
	v_fma_f16 v44, v50, s2, v44
	;; [unrolled: 1-line block ×3, first 2 shown]
	v_add_f16_e32 v23, v13, v17
	v_fma_f16 v23, v23, -0.5, v19
	v_fma_f16 v51, v46, s0, v23
	v_sub_f16_e32 v54, v21, v17
	v_sub_f16_e32 v55, v15, v13
	v_fma_f16 v23, v46, s6, v23
	v_add_f16_e32 v54, v55, v54
	v_fma_f16 v23, v29, s1, v23
	v_fma_f16 v51, v29, s3, v51
	v_fma_f16 v29, v54, s2, v23
	v_pk_add_f16 v46, v19, v13
	v_add_f16_sdwa v23, v15, v21 dst_sel:DWORD dst_unused:UNUSED_PAD src0_sel:WORD_1 src1_sel:WORD_1
	v_lshrrev_b32_e32 v19, 16, v19
	v_sub_f16_sdwa v56, v13, v15 dst_sel:DWORD dst_unused:UNUSED_PAD src0_sel:WORD_1 src1_sel:WORD_1
	v_sub_f16_sdwa v57, v17, v21 dst_sel:DWORD dst_unused:UNUSED_PAD src0_sel:WORD_1 src1_sel:WORD_1
	v_fma_f16 v51, v54, s2, v51
	v_fma_f16 v23, v23, -0.5, v19
	v_sub_f16_e32 v54, v13, v17
	v_add_f16_e32 v56, v56, v57
	v_sub_f16_e32 v57, v15, v21
	v_pk_add_f16 v46, v46, v15
	v_sub_f16_sdwa v15, v15, v13 dst_sel:DWORD dst_unused:UNUSED_PAD src0_sel:WORD_1 src1_sel:WORD_1
	v_add_f16_sdwa v13, v13, v17 dst_sel:DWORD dst_unused:UNUSED_PAD src0_sel:WORD_1 src1_sel:WORD_1
	v_fma_f16 v55, v54, s0, v23
	v_pk_add_f16 v46, v46, v21
	v_fma_f16 v13, v13, -0.5, v19
	v_fma_f16 v55, v57, s1, v55
	v_pk_add_f16 v46, v46, v17
	v_fma_f16 v19, v57, s6, v13
	v_sub_f16_sdwa v17, v21, v17 dst_sel:DWORD dst_unused:UNUSED_PAD src0_sel:WORD_1 src1_sel:WORD_1
	v_fma_f16 v13, v57, s0, v13
	v_fma_f16 v55, v56, s2, v55
	;; [unrolled: 1-line block ×3, first 2 shown]
	v_add_f16_e32 v15, v15, v17
	v_fma_f16 v13, v54, s3, v13
	v_fma_f16 v23, v54, s6, v23
	;; [unrolled: 1-line block ×4, first 2 shown]
	v_mul_f16_e32 v15, 0xb8b4, v55
	v_fma_f16 v23, v57, s3, v23
	v_fma_f16 v15, v44, s7, v15
	v_mul_f16_e32 v44, 0x38b4, v44
	v_fma_f16 v56, v56, s2, v23
	v_mul_f16_e32 v21, 0xbb9c, v17
	v_mul_f16_e32 v57, 0xbb9c, v13
	v_fma_f16 v44, v55, s7, v44
	v_mul_f16_e32 v17, 0x34f2, v17
	v_mul_f16_e32 v13, 0xb4f2, v13
	v_add_f16_e32 v19, v47, v15
	v_fma_f16 v21, v51, s2, v21
	v_fma_f16 v57, v29, s8, v57
	v_mul_f16_e32 v60, 0xb8b4, v56
	v_fma_f16 v17, v51, s0, v17
	v_add_f16_e32 v51, v52, v44
	v_fma_f16 v13, v29, s0, v13
	v_mul_f16_e32 v56, 0xba79, v56
	v_mad_u32_u24 v58, v0, 36, v33
	v_add_f16_e32 v54, v49, v21
	v_add_f16_e32 v59, v48, v57
	v_fma_f16 v60, v50, s9, v60
	v_pk_add_f16 v55, v43, v46
	v_add_f16_e32 v29, v25, v17
	v_fma_f16 v50, v50, s1, v56
	v_add_f16_e32 v56, v27, v13
	v_sub_f16_e32 v15, v47, v15
	v_sub_f16_e32 v21, v49, v21
	;; [unrolled: 1-line block ×4, first 2 shown]
	v_pack_b32_f16 v19, v19, v51
	v_add_f16_e32 v61, v45, v60
	v_add_f16_e32 v47, v53, v50
	v_sub_f16_e32 v48, v48, v57
	v_sub_f16_e32 v45, v45, v60
	;; [unrolled: 1-line block ×4, first 2 shown]
	s_barrier
	ds_write2_b32 v58, v55, v19 offset1:1
	v_pack_b32_f16 v19, v59, v56
	v_pack_b32_f16 v27, v54, v29
	;; [unrolled: 1-line block ×4, first 2 shown]
	s_movk_i32 s0, 0x48
	v_add_f16_e32 v7, v20, v22
	v_add_f16_e32 v8, v14, v40
	;; [unrolled: 1-line block ×4, first 2 shown]
	v_sub_f16_e32 v10, v37, v18
	v_pk_add_f16 v9, v36, v16 neg_lo:[0,1] neg_hi:[0,1]
	v_sub_f16_sdwa v23, v37, v39 dst_sel:DWORD dst_unused:UNUSED_PAD src0_sel:WORD_1 src1_sel:DWORD
	ds_write2_b32 v58, v27, v19 offset0:2 offset1:3
	v_pk_add_f16 v19, v43, v46 neg_lo:[0,1] neg_hi:[0,1]
	v_pack_b32_f16 v27, v61, v47
	ds_write2_b32 v58, v15, v17 offset0:6 offset1:7
	v_pack_b32_f16 v15, v45, v25
	v_pack_b32_f16 v13, v48, v13
	v_cmp_gt_u32_e64 s[0:1], s0, v0
	ds_write2_b32 v58, v27, v19 offset0:4 offset1:5
	ds_write2_b32 v58, v13, v15 offset0:8 offset1:9
	s_and_saveexec_b64 s[2:3], s[0:1]
	s_cbranch_execz .LBB0_15
; %bb.14:
	s_mov_b32 s0, 0x5040100
	v_mul_i32_i24_e32 v17, 40, v4
	v_perm_b32 v18, v39, v18, s0
	v_add3_u32 v17, 0, v17, v5
	v_pk_add_f16 v18, v37, v18
	v_pk_add_f16 v16, v36, v16
	ds_write2_b32 v17, v16, v18 offset1:1
	v_perm_b32 v16, v24, v7, s0
	v_perm_b32 v18, v1, v6, s0
	v_sub_f16_e32 v13, v38, v42
	v_sub_f16_e32 v12, v12, v41
	;; [unrolled: 1-line block ×4, first 2 shown]
	ds_write2_b32 v17, v18, v16 offset0:2 offset1:3
	v_perm_b32 v16, v28, v8, s0
	ds_write2_b32 v17, v16, v9 offset0:4 offset1:5
	v_perm_b32 v16, v26, v11, s0
	v_perm_b32 v18, v23, v10, s0
	v_pack_b32_f16 v13, v14, v13
	v_pack_b32_f16 v12, v15, v12
	ds_write2_b32 v17, v18, v16 offset0:6 offset1:7
	ds_write2_b32 v17, v12, v13 offset0:8 offset1:9
.LBB0_15:
	s_or_b64 exec, exec, s[2:3]
	v_add_u32_e32 v14, 0x800, v33
	v_add_u32_e32 v16, 0xe00, v33
	v_add_u32_e32 v18, 0x1400, v33
	v_lshlrev_b32_e32 v22, 2, v4
	s_waitcnt lgkmcnt(0)
	s_barrier
	ds_read2_b32 v[12:13], v34 offset0:64 offset1:184
	ds_read2_b32 v[14:15], v14 offset0:128 offset1:248
	;; [unrolled: 1-line block ×3, first 2 shown]
	ds_read2_b32 v[18:19], v18 offset1:120
	ds_read2_b32 v[20:21], v35 offset0:64 offset1:184
	v_add3_u32 v22, 0, v22, v5
	ds_read_b32 v27, v30
	ds_read_b32 v25, v22
	s_movk_i32 s0, 0x50
	v_cmp_gt_u32_e64 s[0:1], s0, v0
	s_and_saveexec_b64 s[2:3], s[0:1]
	s_cbranch_execz .LBB0_17
; %bb.16:
	v_add_u32_e32 v1, 0xc0, v33
	ds_read2st64_b32 v[6:7], v1 offset0:3 offset1:8
	ds_read2st64_b32 v[8:9], v1 offset0:13 offset1:18
	;; [unrolled: 1-line block ×3, first 2 shown]
	s_waitcnt lgkmcnt(2)
	v_lshrrev_b32_e32 v1, 16, v6
	v_lshrrev_b32_e32 v24, 16, v7
	s_waitcnt lgkmcnt(1)
	v_lshrrev_b32_e32 v28, 16, v8
	s_waitcnt lgkmcnt(0)
	v_lshrrev_b32_e32 v23, 16, v10
	v_lshrrev_b32_e32 v26, 16, v11
.LBB0_17:
	s_or_b64 exec, exec, s[2:3]
	s_movk_i32 s2, 0xcd
	v_mul_lo_u16_sdwa v29, v0, s2 dst_sel:DWORD dst_unused:UNUSED_PAD src0_sel:BYTE_0 src1_sel:DWORD
	v_lshrrev_b16_e32 v29, 11, v29
	v_mul_lo_u16_sdwa v40, v4, s2 dst_sel:DWORD dst_unused:UNUSED_PAD src0_sel:BYTE_0 src1_sel:DWORD
	v_mul_lo_u16_e32 v34, 10, v29
	v_lshrrev_b16_e32 v43, 11, v40
	v_sub_u16_e32 v42, v0, v34
	v_mov_b32_e32 v38, 5
	v_mul_lo_u16_e32 v40, 10, v43
	v_mul_u32_u24_sdwa v34, v42, v38 dst_sel:DWORD dst_unused:UNUSED_PAD src0_sel:BYTE_0 src1_sel:DWORD
	v_sub_u16_e32 v44, v4, v40
	v_lshlrev_b32_e32 v39, 2, v34
	v_mul_u32_u24_sdwa v38, v44, v38 dst_sel:DWORD dst_unused:UNUSED_PAD src0_sel:BYTE_0 src1_sel:DWORD
	global_load_dwordx4 v[34:37], v39, s[4:5]
	global_load_dword v45, v39, s[4:5] offset:16
	v_lshlrev_b32_e32 v46, 2, v38
	global_load_dwordx4 v[38:41], v46, s[4:5]
	global_load_dword v47, v46, s[4:5] offset:16
	s_waitcnt lgkmcnt(6)
	v_lshrrev_b32_e32 v51, 16, v12
	s_waitcnt lgkmcnt(5)
	v_lshrrev_b32_e32 v52, 16, v14
	;; [unrolled: 2-line block ×3, first 2 shown]
	v_lshrrev_b32_e32 v49, 16, v19
	v_lshrrev_b32_e32 v53, 16, v16
	s_waitcnt lgkmcnt(2)
	v_lshrrev_b32_e32 v55, 16, v20
	v_lshrrev_b32_e32 v56, 16, v13
	;; [unrolled: 1-line block ×5, first 2 shown]
	s_waitcnt lgkmcnt(1)
	v_lshrrev_b32_e32 v46, 16, v27
	s_mov_b32 s8, 0xbaee
	s_movk_i32 s7, 0x3aee
	s_waitcnt lgkmcnt(0)
	v_lshrrev_b32_e32 v48, 16, v25
	s_movk_i32 s2, 0xf0
	s_barrier
	s_mov_b32 s6, 0xffff
	s_waitcnt vmcnt(3)
	v_mul_f16_sdwa v59, v34, v51 dst_sel:DWORD dst_unused:UNUSED_PAD src0_sel:WORD_1 src1_sel:DWORD
	v_mul_f16_sdwa v60, v34, v12 dst_sel:DWORD dst_unused:UNUSED_PAD src0_sel:WORD_1 src1_sel:DWORD
	;; [unrolled: 1-line block ×8, first 2 shown]
	s_waitcnt vmcnt(2)
	v_mul_f16_sdwa v67, v45, v55 dst_sel:DWORD dst_unused:UNUSED_PAD src0_sel:WORD_1 src1_sel:DWORD
	v_mul_f16_sdwa v68, v45, v20 dst_sel:DWORD dst_unused:UNUSED_PAD src0_sel:WORD_1 src1_sel:DWORD
	s_waitcnt vmcnt(1)
	v_mul_f16_sdwa v69, v38, v56 dst_sel:DWORD dst_unused:UNUSED_PAD src0_sel:WORD_1 src1_sel:DWORD
	v_mul_f16_sdwa v70, v38, v13 dst_sel:DWORD dst_unused:UNUSED_PAD src0_sel:WORD_1 src1_sel:DWORD
	;; [unrolled: 1-line block ×6, first 2 shown]
	v_mul_f16_sdwa v75, v49, v41 dst_sel:DWORD dst_unused:UNUSED_PAD src0_sel:DWORD src1_sel:WORD_1
	v_mul_f16_sdwa v76, v19, v41 dst_sel:DWORD dst_unused:UNUSED_PAD src0_sel:DWORD src1_sel:WORD_1
	s_waitcnt vmcnt(0)
	v_mul_f16_sdwa v78, v21, v47 dst_sel:DWORD dst_unused:UNUSED_PAD src0_sel:DWORD src1_sel:WORD_1
	v_fma_f16 v51, v34, v51, -v60
	v_fma_f16 v52, v35, v52, -v62
	v_fma_f16 v12, v34, v12, v59
	v_fma_f16 v14, v35, v14, v61
	;; [unrolled: 1-line block ×3, first 2 shown]
	v_fma_f16 v34, v37, v54, -v66
	v_mul_f16_sdwa v77, v50, v47 dst_sel:DWORD dst_unused:UNUSED_PAD src0_sel:DWORD src1_sel:WORD_1
	v_fma_f16 v53, v36, v53, -v64
	v_fma_f16 v16, v36, v16, v63
	v_fma_f16 v20, v45, v20, v67
	v_fma_f16 v35, v45, v55, -v68
	v_fma_f16 v13, v38, v13, v69
	v_fma_f16 v36, v38, v56, -v70
	;; [unrolled: 2-line block ×5, first 2 shown]
	v_fma_f16 v40, v50, v47, -v78
	v_add_f16_e32 v41, v27, v14
	v_add_f16_e32 v45, v14, v18
	;; [unrolled: 1-line block ×3, first 2 shown]
	v_fma_f16 v21, v21, v47, v77
	v_sub_f16_e32 v47, v52, v34
	v_sub_f16_e32 v14, v14, v18
	v_add_f16_e32 v54, v16, v20
	v_add_f16_e32 v18, v41, v18
	v_fma_f16 v27, v45, -0.5, v27
	v_fma_f16 v41, v50, -0.5, v46
	v_add_f16_e32 v49, v46, v52
	v_add_f16_e32 v52, v12, v16
	v_fma_f16 v12, v54, -0.5, v12
	v_fma_f16 v46, v47, s8, v27
	v_fma_f16 v27, v47, s7, v27
	;; [unrolled: 1-line block ×4, first 2 shown]
	v_sub_f16_e32 v41, v53, v35
	v_add_f16_e32 v34, v49, v34
	v_fma_f16 v49, v41, s8, v12
	v_fma_f16 v12, v41, s7, v12
	v_add_f16_e32 v41, v51, v53
	v_add_f16_e32 v41, v41, v35
	;; [unrolled: 1-line block ×3, first 2 shown]
	v_fma_f16 v35, v35, -0.5, v51
	v_sub_f16_e32 v16, v16, v20
	v_add_f16_e32 v45, v52, v20
	v_fma_f16 v20, v16, s7, v35
	v_fma_f16 v16, v16, s8, v35
	v_mul_f16_e32 v52, 0xbaee, v16
	v_mul_f16_e32 v16, -0.5, v16
	v_mul_f16_e32 v50, 0xbaee, v20
	v_fma_f16 v52, v12, -0.5, v52
	v_add_f16_e32 v54, v34, v41
	v_fma_f16 v12, v12, s7, v16
	v_sub_f16_e32 v34, v34, v41
	v_add_f16_e32 v41, v15, v19
	v_fma_f16 v50, v49, 0.5, v50
	v_add_f16_e32 v16, v14, v12
	v_sub_f16_e32 v12, v14, v12
	v_add_f16_e32 v14, v25, v15
	v_fma_f16 v25, v41, -0.5, v25
	v_sub_f16_e32 v41, v37, v39
	v_add_f16_e32 v35, v18, v45
	v_add_f16_e32 v51, v46, v50
	v_sub_f16_e32 v18, v18, v45
	v_sub_f16_e32 v45, v46, v50
	v_fma_f16 v46, v41, s8, v25
	v_fma_f16 v25, v41, s7, v25
	v_add_f16_e32 v41, v48, v37
	v_add_f16_e32 v37, v37, v39
	v_mul_f16_e32 v20, 0.5, v20
	v_add_f16_e32 v41, v41, v39
	v_fma_f16 v37, v37, -0.5, v48
	v_sub_f16_e32 v15, v15, v19
	v_add_f16_e32 v39, v17, v21
	v_fma_f16 v20, v49, s7, v20
	v_add_f16_e32 v14, v14, v19
	v_fma_f16 v19, v15, s7, v37
	v_fma_f16 v15, v15, s8, v37
	v_add_f16_e32 v37, v13, v17
	v_fma_f16 v13, v39, -0.5, v13
	v_sub_f16_e32 v39, v38, v40
	v_add_f16_e32 v49, v47, v20
	v_sub_f16_e32 v20, v47, v20
	v_fma_f16 v47, v39, s8, v13
	v_fma_f16 v13, v39, s7, v13
	v_add_f16_e32 v39, v36, v38
	v_add_f16_e32 v38, v38, v40
	v_fma_f16 v36, v38, -0.5, v36
	v_sub_f16_e32 v17, v17, v21
	v_add_f16_e32 v37, v37, v21
	v_fma_f16 v21, v17, s7, v36
	v_fma_f16 v17, v17, s8, v36
	v_mul_f16_e32 v38, 0xbaee, v21
	v_mul_f16_e32 v21, 0.5, v21
	v_mul_f16_e32 v48, 0xbaee, v17
	v_fma_f16 v21, v47, s7, v21
	v_mul_f16_e32 v17, -0.5, v17
	v_fma_f16 v38, v47, 0.5, v38
	v_fma_f16 v48, v13, -0.5, v48
	v_add_f16_e32 v47, v19, v21
	v_fma_f16 v13, v13, s7, v17
	v_sub_f16_e32 v19, v19, v21
	v_mov_b32_e32 v21, 2
	v_add_f16_e32 v53, v27, v52
	v_add_f16_e32 v17, v15, v13
	v_sub_f16_e32 v13, v15, v13
	v_mad_u32_u24 v15, v29, s2, 0
	v_lshlrev_b32_sdwa v29, v21, v42 dst_sel:DWORD dst_unused:UNUSED_PAD src0_sel:DWORD src1_sel:BYTE_0
	v_sub_f16_e32 v27, v27, v52
	v_add3_u32 v15, v15, v29, v5
	v_pack_b32_f16 v16, v53, v16
	v_pack_b32_f16 v18, v18, v34
	v_add_f16_e32 v39, v39, v40
	v_pack_b32_f16 v29, v35, v54
	v_pack_b32_f16 v35, v51, v49
	ds_write2_b32 v15, v16, v18 offset0:20 offset1:30
	v_pack_b32_f16 v16, v45, v20
	v_pack_b32_f16 v12, v27, v12
	v_add_f16_e32 v36, v14, v37
	v_add_f16_e32 v40, v46, v38
	;; [unrolled: 1-line block ×3, first 2 shown]
	ds_write2_b32 v15, v29, v35 offset1:10
	ds_write2_b32 v15, v16, v12 offset0:40 offset1:50
	v_mad_u32_u24 v12, v43, s2, 0
	v_lshlrev_b32_sdwa v15, v21, v44 dst_sel:DWORD dst_unused:UNUSED_PAD src0_sel:DWORD src1_sel:BYTE_0
	v_add_f16_e32 v50, v25, v48
	v_sub_f16_e32 v14, v14, v37
	v_sub_f16_e32 v37, v46, v38
	;; [unrolled: 1-line block ×3, first 2 shown]
	v_add3_u32 v12, v12, v15, v5
	v_pack_b32_f16 v15, v36, v52
	v_pack_b32_f16 v16, v40, v47
	v_sub_f16_e32 v25, v25, v48
	ds_write2_b32 v12, v15, v16 offset1:10
	v_pack_b32_f16 v15, v50, v17
	v_pack_b32_f16 v14, v14, v38
	ds_write2_b32 v12, v15, v14 offset0:20 offset1:30
	v_pack_b32_f16 v14, v37, v19
	v_pack_b32_f16 v13, v25, v13
	ds_write2_b32 v12, v14, v13 offset0:40 offset1:50
	s_and_saveexec_b64 s[2:3], s[0:1]
	s_cbranch_execz .LBB0_19
; %bb.18:
	v_add_u32_e32 v12, 0xf0, v0
	s_mov_b32 s0, 0xcccd
	v_mul_u32_u24_sdwa v13, v12, s0 dst_sel:DWORD dst_unused:UNUSED_PAD src0_sel:WORD_0 src1_sel:DWORD
	v_lshrrev_b32_e32 v16, 19, v13
	v_mul_lo_u16_e32 v13, 10, v16
	v_sub_u16_e32 v17, v12, v13
	v_mul_u32_u24_e32 v12, 5, v17
	v_lshlrev_b32_e32 v18, 2, v12
	global_load_dwordx4 v[12:15], v18, s[4:5]
	global_load_dword v19, v18, s[4:5] offset:16
	v_mul_lo_u16_e32 v16, 60, v16
	v_lshrrev_b32_e32 v18, 16, v9
	v_lshlrev_b32_e32 v16, 2, v16
	v_lshl_add_u32 v17, v17, 2, 0
	v_add3_u32 v16, v17, v16, v5
	s_waitcnt vmcnt(1)
	v_mul_f16_sdwa v17, v8, v13 dst_sel:DWORD dst_unused:UNUSED_PAD src0_sel:DWORD src1_sel:WORD_1
	v_mul_f16_sdwa v21, v28, v13 dst_sel:DWORD dst_unused:UNUSED_PAD src0_sel:DWORD src1_sel:WORD_1
	;; [unrolled: 1-line block ×4, first 2 shown]
	s_waitcnt vmcnt(0)
	v_mul_f16_sdwa v36, v11, v19 dst_sel:DWORD dst_unused:UNUSED_PAD src0_sel:DWORD src1_sel:WORD_1
	v_mul_f16_sdwa v20, v10, v15 dst_sel:DWORD dst_unused:UNUSED_PAD src0_sel:DWORD src1_sel:WORD_1
	;; [unrolled: 1-line block ×5, first 2 shown]
	v_fma_f16 v17, v28, v13, -v17
	v_fma_f16 v8, v8, v13, v21
	v_fma_f16 v9, v9, v14, v29
	v_fma_f16 v13, v18, v14, -v35
	v_fma_f16 v14, v26, v19, -v36
	v_mul_f16_sdwa v25, v23, v15 dst_sel:DWORD dst_unused:UNUSED_PAD src0_sel:DWORD src1_sel:WORD_1
	v_fma_f16 v20, v23, v15, -v20
	v_fma_f16 v7, v7, v12, v27
	v_fma_f16 v11, v11, v19, v34
	v_fma_f16 v12, v24, v12, -v37
	v_add_f16_e32 v23, v13, v14
	v_fma_f16 v10, v10, v15, v25
	v_add_f16_e32 v15, v17, v20
	v_add_f16_e32 v19, v9, v11
	v_sub_f16_e32 v21, v13, v14
	v_sub_f16_e32 v24, v9, v11
	v_add_f16_e32 v25, v1, v17
	v_add_f16_e32 v13, v12, v13
	v_fma_f16 v12, v23, -0.5, v12
	v_sub_f16_e32 v18, v8, v10
	v_add_f16_e32 v26, v8, v10
	v_add_f16_e32 v8, v6, v8
	;; [unrolled: 1-line block ×3, first 2 shown]
	v_fma_f16 v1, v15, -0.5, v1
	v_fma_f16 v7, v19, -0.5, v7
	v_add_f16_e32 v15, v25, v20
	v_add_f16_e32 v13, v13, v14
	v_fma_f16 v14, v24, s8, v12
	v_fma_f16 v12, v24, s7, v12
	v_sub_f16_e32 v17, v17, v20
	v_fma_f16 v6, v26, -0.5, v6
	v_add_f16_e32 v8, v8, v10
	v_add_f16_e32 v9, v9, v11
	v_fma_f16 v10, v18, s8, v1
	v_fma_f16 v11, v21, s7, v7
	;; [unrolled: 1-line block ×4, first 2 shown]
	v_sub_f16_e32 v18, v15, v13
	v_add_f16_e32 v13, v15, v13
	v_mul_f16_e32 v15, 0.5, v12
	v_mul_f16_e32 v12, 0xbaee, v12
	v_fma_f16 v19, v17, s7, v6
	v_fma_f16 v6, v17, s8, v6
	v_sub_f16_e32 v17, v8, v9
	v_add_f16_e32 v8, v8, v9
	v_mul_f16_e32 v9, -0.5, v14
	v_mul_f16_e32 v14, 0xbaee, v14
	v_fma_f16 v15, v7, s7, v15
	v_fma_f16 v7, v7, 0.5, v12
	v_pack_b32_f16 v8, v8, v13
	v_pack_b32_f16 v13, v17, v18
	v_fma_f16 v9, v11, s7, v9
	v_fma_f16 v11, v11, -0.5, v14
	v_sub_f16_e32 v14, v1, v15
	v_sub_f16_e32 v18, v6, v7
	v_add_f16_e32 v1, v1, v15
	v_add_f16_e32 v6, v6, v7
	v_sub_f16_e32 v12, v10, v9
	v_sub_f16_e32 v17, v19, v11
	v_add_f16_e32 v9, v10, v9
	v_add_f16_e32 v10, v19, v11
	v_pack_b32_f16 v1, v6, v1
	v_pack_b32_f16 v6, v10, v9
	;; [unrolled: 1-line block ×4, first 2 shown]
	ds_write2_b32 v16, v8, v1 offset1:10
	ds_write2_b32 v16, v6, v13 offset0:20 offset1:30
	ds_write2_b32 v16, v7, v9 offset0:40 offset1:50
.LBB0_19:
	s_or_b64 exec, exec, s[2:3]
	v_subrev_u32_e32 v1, 60, v0
	v_cmp_gt_u32_e64 s[0:1], 60, v0
	v_mov_b32_e32 v7, 0
	s_waitcnt lgkmcnt(0)
	v_cndmask_b32_e64 v1, v1, v0, s[0:1]
	v_mul_i32_i24_e32 v6, 15, v1
	v_lshl_add_u64 v[20:21], v[6:7], 2, s[4:5]
	s_barrier
	global_load_dwordx4 v[8:11], v[20:21], off offset:200
	global_load_dwordx4 v[12:15], v[20:21], off offset:216
	global_load_dwordx4 v[16:19], v[20:21], off offset:232
	global_load_dwordx3 v[24:26], v[20:21], off offset:248
	ds_read_b32 v6, v30
	ds_read_b32 v23, v22
	v_add_u32_e32 v27, 0x200, v33
	v_add_u32_e32 v44, 0x600, v33
	;; [unrolled: 1-line block ×7, first 2 shown]
	ds_read2_b32 v[20:21], v27 offset0:112 offset1:232
	ds_read2_b32 v[28:29], v44 offset0:96 offset1:216
	;; [unrolled: 1-line block ×7, first 2 shown]
	s_waitcnt lgkmcnt(7)
	v_lshrrev_b32_e32 v50, 16, v23
	s_waitcnt lgkmcnt(5)
	v_lshrrev_b32_e32 v51, 16, v28
	v_lshrrev_b32_e32 v63, 16, v20
	s_waitcnt lgkmcnt(3)
	v_lshrrev_b32_e32 v56, 16, v37
	s_waitcnt lgkmcnt(2)
	v_lshrrev_b32_e32 v57, 16, v38
	v_lshrrev_b32_e32 v58, 16, v39
	;; [unrolled: 1-line block ×3, first 2 shown]
	s_waitcnt lgkmcnt(1)
	v_lshrrev_b32_e32 v59, 16, v40
	v_lshrrev_b32_e32 v60, 16, v41
	s_waitcnt lgkmcnt(0)
	v_lshrrev_b32_e32 v61, 16, v42
	v_lshrrev_b32_e32 v53, 16, v34
	;; [unrolled: 1-line block ×6, first 2 shown]
	s_mov_b32 s0, 0xb9a8
	s_movk_i32 s1, 0x39a8
	s_mov_b32 s2, 0xbb64
	s_movk_i32 s3, 0x361f
	;; [unrolled: 2-line block ×3, first 2 shown]
	s_barrier
	s_waitcnt vmcnt(3)
	v_mul_f16_sdwa v65, v8, v50 dst_sel:DWORD dst_unused:UNUSED_PAD src0_sel:WORD_1 src1_sel:DWORD
	v_mul_f16_sdwa v66, v8, v23 dst_sel:DWORD dst_unused:UNUSED_PAD src0_sel:WORD_1 src1_sel:DWORD
	;; [unrolled: 1-line block ×4, first 2 shown]
	v_mul_f16_sdwa v71, v51, v11 dst_sel:DWORD dst_unused:UNUSED_PAD src0_sel:DWORD src1_sel:WORD_1
	v_mul_f16_sdwa v72, v28, v11 dst_sel:DWORD dst_unused:UNUSED_PAD src0_sel:DWORD src1_sel:WORD_1
	v_mul_f16_sdwa v69, v10, v64 dst_sel:DWORD dst_unused:UNUSED_PAD src0_sel:WORD_1 src1_sel:DWORD
	v_mul_f16_sdwa v70, v10, v21 dst_sel:DWORD dst_unused:UNUSED_PAD src0_sel:WORD_1 src1_sel:DWORD
	v_fma_f16 v20, v9, v20, v67
	v_fma_f16 v23, v8, v23, v65
	v_fma_f16 v8, v8, v50, -v66
	v_fma_f16 v9, v9, v63, -v68
	;; [unrolled: 1-line block ×3, first 2 shown]
	s_waitcnt vmcnt(1)
	v_mul_f16_sdwa v66, v56, v16 dst_sel:DWORD dst_unused:UNUSED_PAD src0_sel:DWORD src1_sel:WORD_1
	v_fma_f16 v11, v28, v11, v71
	v_mul_f16_sdwa v28, v37, v16 dst_sel:DWORD dst_unused:UNUSED_PAD src0_sel:DWORD src1_sel:WORD_1
	v_mul_f16_sdwa v68, v57, v17 dst_sel:DWORD dst_unused:UNUSED_PAD src0_sel:DWORD src1_sel:WORD_1
	;; [unrolled: 1-line block ×3, first 2 shown]
	v_fma_f16 v21, v10, v21, v69
	v_fma_f16 v10, v10, v64, -v70
	v_mul_f16_sdwa v70, v38, v17 dst_sel:DWORD dst_unused:UNUSED_PAD src0_sel:DWORD src1_sel:WORD_1
	v_fma_f16 v37, v37, v16, v66
	v_fma_f16 v16, v56, v16, -v28
	v_fma_f16 v28, v38, v17, v68
	v_fma_f16 v38, v39, v18, v71
	v_mul_f16_sdwa v39, v39, v18 dst_sel:DWORD dst_unused:UNUSED_PAD src0_sel:DWORD src1_sel:WORD_1
	v_fma_f16 v18, v58, v18, -v39
	v_mul_f16_sdwa v39, v59, v19 dst_sel:DWORD dst_unused:UNUSED_PAD src0_sel:DWORD src1_sel:WORD_1
	v_fma_f16 v39, v40, v19, v39
	v_mul_f16_sdwa v40, v40, v19 dst_sel:DWORD dst_unused:UNUSED_PAD src0_sel:DWORD src1_sel:WORD_1
	v_fma_f16 v19, v59, v19, -v40
	s_waitcnt vmcnt(0)
	v_mul_f16_sdwa v40, v60, v24 dst_sel:DWORD dst_unused:UNUSED_PAD src0_sel:DWORD src1_sel:WORD_1
	v_fma_f16 v40, v41, v24, v40
	v_mul_f16_sdwa v41, v41, v24 dst_sel:DWORD dst_unused:UNUSED_PAD src0_sel:DWORD src1_sel:WORD_1
	v_fma_f16 v24, v60, v24, -v41
	v_mul_f16_sdwa v41, v61, v25 dst_sel:DWORD dst_unused:UNUSED_PAD src0_sel:DWORD src1_sel:WORD_1
	v_fma_f16 v41, v42, v25, v41
	v_mul_f16_sdwa v42, v42, v25 dst_sel:DWORD dst_unused:UNUSED_PAD src0_sel:DWORD src1_sel:WORD_1
	v_mul_f16_sdwa v67, v53, v13 dst_sel:DWORD dst_unused:UNUSED_PAD src0_sel:DWORD src1_sel:WORD_1
	;; [unrolled: 1-line block ×4, first 2 shown]
	v_fma_f16 v25, v61, v25, -v42
	v_mul_f16_sdwa v42, v62, v26 dst_sel:DWORD dst_unused:UNUSED_PAD src0_sel:DWORD src1_sel:WORD_1
	v_mul_f16_sdwa v64, v36, v15 dst_sel:DWORD dst_unused:UNUSED_PAD src0_sel:DWORD src1_sel:WORD_1
	v_fma_f16 v34, v34, v13, v67
	v_fma_f16 v13, v53, v13, -v69
	v_fma_f16 v36, v36, v15, v63
	v_fma_f16 v42, v43, v26, v42
	v_mul_f16_sdwa v43, v43, v26 dst_sel:DWORD dst_unused:UNUSED_PAD src0_sel:DWORD src1_sel:WORD_1
	v_mul_f16_sdwa v73, v52, v12 dst_sel:DWORD dst_unused:UNUSED_PAD src0_sel:DWORD src1_sel:WORD_1
	;; [unrolled: 1-line block ×5, first 2 shown]
	v_fma_f16 v15, v55, v15, -v64
	v_fma_f16 v17, v57, v17, -v70
	;; [unrolled: 1-line block ×3, first 2 shown]
	v_lshrrev_b32_e32 v43, 16, v6
	v_sub_f16_e32 v36, v6, v36
	v_sub_f16_e32 v19, v51, v19
	;; [unrolled: 1-line block ×4, first 2 shown]
	v_fma_f16 v29, v29, v12, v73
	v_fma_f16 v12, v52, v12, -v74
	v_fma_f16 v35, v35, v14, v65
	v_fma_f16 v14, v54, v14, -v50
	v_sub_f16_e32 v15, v43, v15
	v_sub_f16_e32 v39, v11, v39
	v_fma_f16 v50, v51, 2.0, -v19
	v_sub_f16_e32 v17, v9, v17
	v_sub_f16_e32 v41, v34, v41
	v_fma_f16 v13, v13, 2.0, -v25
	v_add_f16_e32 v19, v36, v19
	v_add_f16_e32 v25, v28, v25
	v_fma_f16 v6, v6, 2.0, -v36
	v_fma_f16 v11, v11, 2.0, -v39
	;; [unrolled: 1-line block ×4, first 2 shown]
	v_sub_f16_e32 v37, v23, v37
	v_sub_f16_e32 v24, v12, v24
	;; [unrolled: 1-line block ×5, first 2 shown]
	v_fma_f16 v36, v36, 2.0, -v19
	v_sub_f16_e32 v41, v17, v41
	v_fma_f16 v28, v28, 2.0, -v25
	v_fma_f16 v43, v43, 2.0, -v15
	;; [unrolled: 1-line block ×3, first 2 shown]
	v_sub_f16_e32 v16, v8, v16
	v_sub_f16_e32 v40, v29, v40
	v_fma_f16 v12, v12, 2.0, -v24
	v_sub_f16_e32 v18, v10, v18
	v_sub_f16_e32 v42, v35, v42
	v_fma_f16 v14, v14, 2.0, -v26
	v_fma_f16 v15, v15, 2.0, -v39
	;; [unrolled: 1-line block ×3, first 2 shown]
	v_add_f16_e32 v24, v37, v24
	v_add_f16_e32 v26, v38, v26
	v_fma_f16 v51, v28, s0, v36
	v_fma_f16 v23, v23, 2.0, -v37
	v_fma_f16 v29, v29, 2.0, -v40
	;; [unrolled: 1-line block ×4, first 2 shown]
	v_sub_f16_e32 v40, v16, v40
	v_fma_f16 v37, v37, 2.0, -v24
	v_sub_f16_e32 v42, v18, v42
	v_fma_f16 v38, v38, 2.0, -v26
	v_fma_f16 v52, v17, s0, v15
	v_fma_f16 v17, v17, s1, v51
	;; [unrolled: 1-line block ×3, first 2 shown]
	v_fma_f16 v8, v8, 2.0, -v16
	v_fma_f16 v10, v10, 2.0, -v18
	;; [unrolled: 1-line block ×4, first 2 shown]
	v_fma_f16 v28, v28, s0, v52
	v_fma_f16 v52, v41, s1, v39
	;; [unrolled: 1-line block ×4, first 2 shown]
	v_sub_f16_e32 v11, v6, v11
	v_sub_f16_e32 v13, v9, v13
	;; [unrolled: 1-line block ×4, first 2 shown]
	v_fma_f16 v25, v25, s0, v52
	v_fma_f16 v52, v18, s0, v16
	;; [unrolled: 1-line block ×3, first 2 shown]
	v_sub_f16_e32 v50, v43, v50
	v_sub_f16_e32 v34, v20, v34
	v_fma_f16 v9, v9, 2.0, -v13
	v_sub_f16_e32 v12, v8, v12
	v_sub_f16_e32 v35, v21, v35
	v_fma_f16 v10, v10, 2.0, -v14
	v_fma_f16 v36, v36, 2.0, -v17
	v_add_f16_e32 v13, v11, v13
	v_fma_f16 v38, v38, s0, v52
	v_fma_f16 v37, v37, 2.0, -v18
	v_add_f16_e32 v14, v29, v14
	v_fma_f16 v51, v26, s1, v24
	v_fma_f16 v6, v6, 2.0, -v11
	v_fma_f16 v20, v20, 2.0, -v34
	;; [unrolled: 1-line block ×5, first 2 shown]
	v_sub_f16_e32 v34, v50, v34
	v_fma_f16 v11, v11, 2.0, -v13
	v_fma_f16 v16, v16, 2.0, -v38
	v_sub_f16_e32 v35, v12, v35
	v_fma_f16 v29, v29, 2.0, -v14
	v_fma_f16 v52, v42, s1, v40
	v_fma_f16 v42, v42, s1, v51
	;; [unrolled: 1-line block ×3, first 2 shown]
	v_fma_f16 v43, v43, 2.0, -v50
	v_fma_f16 v8, v8, 2.0, -v12
	;; [unrolled: 1-line block ×5, first 2 shown]
	v_fma_f16 v26, v26, s0, v52
	v_fma_f16 v24, v24, 2.0, -v42
	v_fma_f16 v52, v16, s2, v15
	v_fma_f16 v16, v16, s3, v51
	;; [unrolled: 1-line block ×3, first 2 shown]
	v_fma_f16 v39, v39, 2.0, -v25
	v_fma_f16 v40, v40, 2.0, -v26
	v_fma_f16 v37, v37, s7, v52
	v_fma_f16 v52, v12, s0, v50
	;; [unrolled: 1-line block ×16, first 2 shown]
	v_sub_f16_e32 v20, v6, v20
	v_sub_f16_e32 v9, v43, v9
	;; [unrolled: 1-line block ×4, first 2 shown]
	v_fma_f16 v14, v14, s0, v52
	v_fma_f16 v52, v26, s8, v25
	;; [unrolled: 1-line block ×3, first 2 shown]
	v_mov_b32_e32 v51, 0x3c0
	v_cmp_lt_u32_e64 s[0:1], 59, v0
	v_fma_f16 v6, v6, 2.0, -v20
	v_fma_f16 v43, v43, 2.0, -v9
	;; [unrolled: 1-line block ×4, first 2 shown]
	v_cndmask_b32_e64 v51, 0, v51, s[0:1]
	v_sub_f16_e32 v23, v6, v23
	v_sub_f16_e32 v8, v43, v8
	v_or_b32_e32 v1, v51, v1
	v_fma_f16 v6, v6, 2.0, -v23
	v_fma_f16 v43, v43, 2.0, -v8
	;; [unrolled: 1-line block ×4, first 2 shown]
	v_lshlrev_b32_e32 v1, 2, v1
	v_fma_f16 v11, v11, 2.0, -v12
	v_fma_f16 v50, v50, 2.0, -v29
	;; [unrolled: 1-line block ×4, first 2 shown]
	v_add_f16_e32 v10, v20, v10
	v_sub_f16_e32 v21, v9, v21
	v_add3_u32 v1, 0, v1, v5
	v_pack_b32_f16 v5, v6, v43
	v_pack_b32_f16 v6, v36, v15
	v_fma_f16 v20, v20, 2.0, -v10
	v_fma_f16 v9, v9, 2.0, -v21
	;; [unrolled: 1-line block ×4, first 2 shown]
	v_fma_f16 v42, v42, s7, v52
	ds_write2_b32 v1, v5, v6 offset1:60
	v_pack_b32_f16 v5, v11, v50
	v_pack_b32_f16 v6, v19, v39
	v_fma_f16 v13, v13, 2.0, -v35
	v_fma_f16 v34, v34, 2.0, -v14
	;; [unrolled: 1-line block ×4, first 2 shown]
	ds_write2_b32 v1, v5, v6 offset0:120 offset1:180
	v_pack_b32_f16 v5, v20, v9
	v_pack_b32_f16 v6, v17, v28
	v_add_u32_e32 v9, 0x200, v1
	ds_write2_b32 v9, v5, v6 offset0:112 offset1:172
	v_pack_b32_f16 v5, v13, v34
	v_pack_b32_f16 v6, v41, v25
	v_add_u32_e32 v9, 0x400, v1
	;; [unrolled: 4-line block ×6, first 2 shown]
	ds_write2_b32 v1, v5, v6 offset0:72 offset1:132
	v_mov_b32_e32 v1, v7
	v_lshl_add_u64 v[8:9], v[0:1], 2, s[4:5]
	s_waitcnt lgkmcnt(0)
	s_barrier
	global_load_dword v16, v[8:9], off offset:3800
	s_movk_i32 s0, 0x1000
	v_add_co_u32_e64 v8, s[0:1], s0, v8
	v_mov_b32_e32 v5, v7
	s_nop 0
	v_addc_co_u32_e64 v9, s[0:1], 0, v9, s[0:1]
	global_load_dword v17, v[8:9], off offset:664
	global_load_dword v18, v[8:9], off offset:1144
	;; [unrolled: 1-line block ×6, first 2 shown]
	v_lshl_add_u64 v[6:7], v[4:5], 2, s[4:5]
	global_load_dword v24, v[6:7], off offset:3800
	ds_read2_b32 v[6:7], v46 offset0:64 offset1:184
	ds_read_b32 v25, v30
	ds_read_b32 v26, v22
	ds_read2_b32 v[8:9], v27 offset0:112 offset1:232
	ds_read2_b32 v[10:11], v47 offset0:48 offset1:168
	;; [unrolled: 1-line block ×4, first 2 shown]
	s_add_u32 s2, s4, 0x1dd8
	s_addc_u32 s3, s5, 0
	v_cmp_ne_u32_e64 s[0:1], 0, v0
	s_waitcnt vmcnt(7) lgkmcnt(6)
	v_pk_mul_f16 v28, v16, v6 op_sel:[0,1]
	s_nop 0
	v_pk_fma_f16 v29, v16, v6, v28 op_sel:[0,0,1] op_sel_hi:[1,1,0]
	v_pk_fma_f16 v6, v16, v6, v28 op_sel:[0,0,1] op_sel_hi:[1,0,0] neg_lo:[1,0,0] neg_hi:[1,0,0]
	s_waitcnt vmcnt(6) lgkmcnt(2)
	v_pk_mul_f16 v16, v17, v10 op_sel:[0,1]
	v_bfi_b32 v6, s6, v29, v6
	v_pk_fma_f16 v28, v17, v10, v16 op_sel:[0,0,1] op_sel_hi:[1,1,0]
	v_pk_fma_f16 v10, v17, v10, v16 op_sel:[0,0,1] op_sel_hi:[1,0,0] neg_lo:[1,0,0] neg_hi:[1,0,0]
	ds_read2_b32 v[16:17], v48 offset0:32 offset1:152
	v_bfi_b32 v10, s6, v28, v10
	v_pk_add_f16 v10, v8, v10 neg_lo:[0,1] neg_hi:[0,1]
	v_pk_add_f16 v6, v25, v6 neg_lo:[0,1] neg_hi:[0,1]
	v_pk_fma_f16 v28, v8, 2.0, v10 op_sel_hi:[1,0,1] neg_lo:[0,0,1] neg_hi:[0,0,1]
	s_waitcnt vmcnt(5)
	v_pk_mul_f16 v8, v18, v11 op_sel:[0,1]
	v_pk_fma_f16 v25, v25, 2.0, v6 op_sel_hi:[1,0,1] neg_lo:[0,0,1] neg_hi:[0,0,1]
	v_pk_fma_f16 v29, v18, v11, v8 op_sel:[0,0,1] op_sel_hi:[1,1,0]
	v_pk_fma_f16 v8, v18, v11, v8 op_sel:[0,0,1] op_sel_hi:[1,0,0] neg_lo:[1,0,0] neg_hi:[1,0,0]
	s_nop 0
	v_bfi_b32 v8, s6, v29, v8
	v_pk_add_f16 v11, v9, v8 neg_lo:[0,1] neg_hi:[0,1]
	s_waitcnt vmcnt(2) lgkmcnt(0)
	v_pk_mul_f16 v8, v16, v21 op_sel:[0,1]
	v_pk_fma_f16 v18, v9, 2.0, v11 op_sel_hi:[1,0,1] neg_lo:[0,0,1] neg_hi:[0,0,1]
	v_pk_fma_f16 v9, v16, v21, v8 op_sel:[0,0,1] op_sel_hi:[1,1,0]
	v_pk_fma_f16 v8, v16, v21, v8 op_sel:[0,0,1] op_sel_hi:[1,0,0] neg_lo:[0,0,1] neg_hi:[0,0,1]
	s_waitcnt vmcnt(1)
	v_pk_mul_f16 v21, v17, v23 op_sel:[0,1]
	v_bfi_b32 v8, s6, v9, v8
	v_pk_add_f16 v16, v12, v8 neg_lo:[0,1] neg_hi:[0,1]
	ds_read2_b32 v[8:9], v49 offset0:16 offset1:136
	v_pk_fma_f16 v29, v17, v23, v21 op_sel:[0,0,1] op_sel_hi:[1,1,0]
	v_pk_fma_f16 v17, v17, v23, v21 op_sel:[0,0,1] op_sel_hi:[1,0,0] neg_lo:[0,0,1] neg_hi:[0,0,1]
	v_pk_fma_f16 v12, v12, 2.0, v16 op_sel_hi:[1,0,1] neg_lo:[0,0,1] neg_hi:[0,0,1]
	v_bfi_b32 v17, s6, v29, v17
	s_waitcnt lgkmcnt(0)
	v_pk_mul_f16 v21, v8, v19 op_sel:[0,1]
	v_pk_add_f16 v17, v13, v17 neg_lo:[0,1] neg_hi:[0,1]
	v_pk_fma_f16 v23, v8, v19, v21 op_sel:[0,0,1] op_sel_hi:[1,1,0]
	v_pk_fma_f16 v8, v8, v19, v21 op_sel:[0,0,1] op_sel_hi:[1,0,0] neg_lo:[0,0,1] neg_hi:[0,0,1]
	v_pk_mul_f16 v19, v9, v20 op_sel:[0,1]
	v_bfi_b32 v8, s6, v23, v8
	v_pk_fma_f16 v21, v9, v20, v19 op_sel:[0,0,1] op_sel_hi:[1,1,0]
	v_pk_fma_f16 v9, v9, v20, v19 op_sel:[0,0,1] op_sel_hi:[1,0,0] neg_lo:[0,0,1] neg_hi:[0,0,1]
	s_waitcnt vmcnt(0)
	v_pk_mul_f16 v19, v24, v7 op_sel:[0,1]
	v_bfi_b32 v9, s6, v21, v9
	v_pk_fma_f16 v20, v24, v7, v19 op_sel:[0,0,1] op_sel_hi:[1,1,0]
	v_pk_fma_f16 v7, v24, v7, v19 op_sel:[0,0,1] op_sel_hi:[1,0,0] neg_lo:[1,0,0] neg_hi:[1,0,0]
	v_pk_add_f16 v8, v14, v8 neg_lo:[0,1] neg_hi:[0,1]
	v_bfi_b32 v7, s6, v20, v7
	v_pk_add_f16 v9, v15, v9 neg_lo:[0,1] neg_hi:[0,1]
	v_pk_add_f16 v7, v26, v7 neg_lo:[0,1] neg_hi:[0,1]
	v_pk_fma_f16 v13, v13, 2.0, v17 op_sel_hi:[1,0,1] neg_lo:[0,0,1] neg_hi:[0,0,1]
	v_pk_fma_f16 v14, v14, 2.0, v8 op_sel_hi:[1,0,1] neg_lo:[0,0,1] neg_hi:[0,0,1]
	;; [unrolled: 1-line block ×4, first 2 shown]
	s_barrier
	ds_write_b32 v33, v25
	ds_write_b32 v33, v6 offset:3840
	ds_write2st64_b32 v22, v19, v7 offset1:15
	ds_write2_b32 v27, v28, v18 offset0:112 offset1:232
	ds_write2_b32 v47, v10, v11 offset0:48 offset1:168
	;; [unrolled: 1-line block ×6, first 2 shown]
	s_waitcnt lgkmcnt(0)
	s_barrier
	ds_read_b32 v12, v30
	v_sub_u32_e32 v8, v31, v32
	v_lshl_add_u64 v[6:7], v[0:1], 2, s[2:3]
                                        ; implicit-def: $vgpr10
                                        ; implicit-def: $vgpr9
                                        ; implicit-def: $vgpr11
	s_and_saveexec_b64 s[4:5], s[0:1]
	s_xor_b64 s[0:1], exec, s[4:5]
	s_cbranch_execz .LBB0_21
; %bb.20:
	global_load_dword v9, v[6:7], off
	ds_read_b32 v10, v8 offset:7680
	s_mov_b32 s4, 0xffff
	s_waitcnt lgkmcnt(0)
	v_pk_add_f16 v11, v12, v10 neg_lo:[0,1] neg_hi:[0,1]
	v_pk_add_f16 v10, v10, v12
	s_nop 0
	v_bfi_b32 v12, s4, v11, v10
	v_bfi_b32 v10, s4, v10, v11
	v_pk_mul_f16 v11, v12, 0.5 op_sel_hi:[1,0]
	v_pk_mul_f16 v12, v10, 0.5 op_sel_hi:[1,0]
	s_waitcnt vmcnt(0)
	v_pk_mul_f16 v13, v9, v11 op_sel:[1,0]
	v_pk_mul_f16 v11, v9, v11 op_sel_hi:[0,1]
	v_pk_fma_f16 v9, v10, 0.5, v13 op_sel_hi:[1,0,1]
	v_sub_f16_e32 v10, v12, v13
	v_sub_f16_sdwa v12, v13, v12 dst_sel:DWORD dst_unused:UNUSED_PAD src0_sel:WORD_1 src1_sel:WORD_1
	v_pk_add_f16 v13, v9, v11 op_sel:[0,1] op_sel_hi:[1,0]
	v_pk_add_f16 v14, v9, v11 op_sel:[0,1] op_sel_hi:[1,0] neg_lo:[0,1] neg_hi:[0,1]
	v_sub_f16_sdwa v9, v10, v11 dst_sel:DWORD dst_unused:UNUSED_PAD src0_sel:DWORD src1_sel:WORD_1
	v_bfi_b32 v10, s4, v13, v14
	v_sub_f16_e32 v11, v12, v11
                                        ; implicit-def: $vgpr12
.LBB0_21:
	s_andn2_saveexec_b64 s[0:1], s[0:1]
	s_cbranch_execz .LBB0_23
; %bb.22:
	ds_read_u16 v11, v31 offset:3842
	s_waitcnt lgkmcnt(1)
	v_alignbit_b32 v10, s0, v12, 16
	v_pk_add_f16 v10, v10, v12
	v_sub_f16_sdwa v9, v12, v12 dst_sel:DWORD dst_unused:UNUSED_PAD src0_sel:DWORD src1_sel:WORD_1
	v_pack_b32_f16 v10, v10, 0
	s_waitcnt lgkmcnt(0)
	v_xor_b32_e32 v11, 0x8000, v11
	ds_write_b16 v31, v11 offset:3842
	v_mov_b32_e32 v11, 0
.LBB0_23:
	s_or_b64 exec, exec, s[0:1]
	s_waitcnt lgkmcnt(0)
	v_lshl_add_u64 v[12:13], v[4:5], 2, s[2:3]
	global_load_dword v5, v[12:13], off
	global_load_dword v14, v[6:7], off offset:960
	global_load_dword v15, v[6:7], off offset:1440
	ds_write_b16 v8, v11 offset:7682
	ds_write_b32 v30, v10
	ds_write_b16 v8, v9 offset:7680
	v_lshl_add_u32 v4, v4, 2, v31
	ds_read_b32 v9, v4
	ds_read_b32 v10, v8 offset:7200
	global_load_dword v11, v[6:7], off offset:1920
	global_load_dword v12, v[6:7], off offset:2400
	;; [unrolled: 1-line block ×4, first 2 shown]
	s_mov_b32 s0, 0xffff
	s_waitcnt lgkmcnt(0)
	v_pk_add_f16 v6, v9, v10 neg_lo:[0,1] neg_hi:[0,1]
	v_pk_add_f16 v7, v9, v10
	s_nop 0
	v_bfi_b32 v9, s0, v6, v7
	v_bfi_b32 v6, s0, v7, v6
	v_pk_mul_f16 v7, v9, 0.5 op_sel_hi:[1,0]
	v_pk_mul_f16 v6, v6, 0.5 op_sel_hi:[1,0]
	s_waitcnt vmcnt(6)
	v_pk_mul_f16 v10, v5, v7 op_sel_hi:[0,1]
	v_pk_fma_f16 v9, v5, v7, v6 op_sel:[1,0,0]
	v_pk_fma_f16 v17, v5, v7, v6 op_sel:[1,0,0] neg_lo:[1,0,0] neg_hi:[1,0,0]
	v_pk_fma_f16 v5, v5, v7, v6 op_sel:[1,0,0] neg_lo:[0,0,1] neg_hi:[0,0,1]
	v_pk_add_f16 v6, v9, v10 op_sel:[0,1] op_sel_hi:[1,0]
	v_pk_add_f16 v7, v9, v10 op_sel:[0,1] op_sel_hi:[1,0] neg_lo:[0,1] neg_hi:[0,1]
	v_pk_add_f16 v9, v17, v10 op_sel:[0,1] op_sel_hi:[1,0] neg_lo:[0,1] neg_hi:[0,1]
	;; [unrolled: 1-line block ×3, first 2 shown]
	v_bfi_b32 v6, s0, v6, v7
	v_bfi_b32 v5, s0, v9, v5
	ds_write_b32 v4, v6
	ds_write_b32 v8, v5 offset:7200
	ds_read_b32 v4, v30 offset:960
	ds_read_b32 v5, v8 offset:6720
	s_waitcnt lgkmcnt(0)
	v_pk_add_f16 v6, v4, v5 neg_lo:[0,1] neg_hi:[0,1]
	v_pk_add_f16 v4, v4, v5
	s_nop 0
	v_bfi_b32 v5, s0, v6, v4
	v_bfi_b32 v4, s0, v4, v6
	v_pk_mul_f16 v5, v5, 0.5 op_sel_hi:[1,0]
	v_pk_mul_f16 v6, v4, 0.5 op_sel_hi:[1,0]
	s_waitcnt vmcnt(5)
	v_pk_mul_f16 v7, v14, v5 op_sel:[1,0]
	v_pk_mul_f16 v5, v14, v5 op_sel_hi:[0,1]
	v_pk_fma_f16 v4, v4, 0.5, v7 op_sel_hi:[1,0,1]
	v_sub_f16_e32 v9, v6, v7
	v_sub_f16_sdwa v6, v7, v6 dst_sel:DWORD dst_unused:UNUSED_PAD src0_sel:WORD_1 src1_sel:WORD_1
	v_pk_add_f16 v7, v4, v5 op_sel:[0,1] op_sel_hi:[1,0]
	v_pk_add_f16 v4, v4, v5 op_sel:[0,1] op_sel_hi:[1,0] neg_lo:[0,1] neg_hi:[0,1]
	v_sub_f16_sdwa v9, v9, v5 dst_sel:DWORD dst_unused:UNUSED_PAD src0_sel:DWORD src1_sel:WORD_1
	v_sub_f16_e32 v5, v6, v5
	v_bfi_b32 v4, s0, v7, v4
	ds_write_b16 v8, v5 offset:6722
	ds_write_b32 v30, v4 offset:960
	ds_write_b16 v8, v9 offset:6720
	ds_read_b32 v4, v30 offset:1440
	ds_read_b32 v5, v8 offset:6240
	s_waitcnt lgkmcnt(0)
	v_pk_add_f16 v6, v4, v5 neg_lo:[0,1] neg_hi:[0,1]
	v_pk_add_f16 v4, v4, v5
	s_nop 0
	v_bfi_b32 v5, s0, v6, v4
	v_bfi_b32 v4, s0, v4, v6
	v_pk_mul_f16 v5, v5, 0.5 op_sel_hi:[1,0]
	v_pk_mul_f16 v6, v4, 0.5 op_sel_hi:[1,0]
	s_waitcnt vmcnt(4)
	v_pk_mul_f16 v7, v15, v5 op_sel:[1,0]
	v_pk_mul_f16 v5, v15, v5 op_sel_hi:[0,1]
	v_pk_fma_f16 v4, v4, 0.5, v7 op_sel_hi:[1,0,1]
	v_sub_f16_e32 v9, v6, v7
	v_sub_f16_sdwa v6, v7, v6 dst_sel:DWORD dst_unused:UNUSED_PAD src0_sel:WORD_1 src1_sel:WORD_1
	v_pk_add_f16 v7, v4, v5 op_sel:[0,1] op_sel_hi:[1,0]
	v_pk_add_f16 v4, v4, v5 op_sel:[0,1] op_sel_hi:[1,0] neg_lo:[0,1] neg_hi:[0,1]
	v_sub_f16_sdwa v9, v9, v5 dst_sel:DWORD dst_unused:UNUSED_PAD src0_sel:DWORD src1_sel:WORD_1
	v_sub_f16_e32 v5, v6, v5
	v_bfi_b32 v4, s0, v7, v4
	ds_write_b16 v8, v5 offset:6242
	ds_write_b32 v30, v4 offset:1440
	ds_write_b16 v8, v9 offset:6240
	;; [unrolled: 24-line block ×5, first 2 shown]
	ds_read_b32 v4, v30 offset:3360
	ds_read_b32 v5, v8 offset:4320
	s_waitcnt lgkmcnt(0)
	v_pk_add_f16 v6, v4, v5 neg_lo:[0,1] neg_hi:[0,1]
	v_pk_add_f16 v4, v4, v5
	s_nop 0
	v_bfi_b32 v5, s0, v6, v4
	v_bfi_b32 v4, s0, v4, v6
	v_pk_mul_f16 v5, v5, 0.5 op_sel_hi:[1,0]
	v_pk_mul_f16 v4, v4, 0.5 op_sel_hi:[1,0]
	s_waitcnt vmcnt(0)
	v_pk_mul_f16 v7, v16, v5 op_sel_hi:[0,1]
	v_pk_fma_f16 v6, v16, v5, v4 op_sel:[1,0,0]
	v_pk_fma_f16 v9, v16, v5, v4 op_sel:[1,0,0] neg_lo:[1,0,0] neg_hi:[1,0,0]
	v_pk_fma_f16 v4, v16, v5, v4 op_sel:[1,0,0] neg_lo:[0,0,1] neg_hi:[0,0,1]
	v_pk_add_f16 v5, v6, v7 op_sel:[0,1] op_sel_hi:[1,0]
	v_pk_add_f16 v6, v6, v7 op_sel:[0,1] op_sel_hi:[1,0] neg_lo:[0,1] neg_hi:[0,1]
	v_pk_add_f16 v9, v9, v7 op_sel:[0,1] op_sel_hi:[1,0] neg_lo:[0,1] neg_hi:[0,1]
	;; [unrolled: 1-line block ×3, first 2 shown]
	v_bfi_b32 v5, s0, v5, v6
	v_bfi_b32 v4, s0, v9, v4
	ds_write_b32 v30, v5 offset:3360
	ds_write_b32 v8, v4 offset:4320
	s_waitcnt lgkmcnt(0)
	s_barrier
	s_and_saveexec_b64 s[0:1], vcc
	s_cbranch_execz .LBB0_26
; %bb.24:
	ds_read2_b32 v[4:5], v30 offset1:120
	v_add_u32_e32 v6, 0x200, v30
	ds_read2_b32 v[6:7], v6 offset0:112 offset1:232
	v_lshl_add_u64 v[8:9], v[0:1], 2, v[2:3]
	v_add_u32_e32 v1, 0x600, v30
	s_waitcnt lgkmcnt(1)
	global_store_dword v[8:9], v4, off
	global_store_dword v[8:9], v5, off offset:480
	s_waitcnt lgkmcnt(0)
	global_store_dword v[8:9], v6, off offset:960
	global_store_dword v[8:9], v7, off offset:1440
	ds_read2_b32 v[4:5], v1 offset0:96 offset1:216
	v_add_u32_e32 v1, 0xa00, v30
	ds_read2_b32 v[6:7], v1 offset0:80 offset1:200
	v_add_u32_e32 v1, 0xe00, v30
	ds_read2_b32 v[10:11], v1 offset0:64 offset1:184
	s_waitcnt lgkmcnt(2)
	global_store_dword v[8:9], v4, off offset:1920
	global_store_dword v[8:9], v5, off offset:2400
	s_waitcnt lgkmcnt(1)
	global_store_dword v[8:9], v6, off offset:2880
	global_store_dword v[8:9], v7, off offset:3360
	s_waitcnt lgkmcnt(0)
	global_store_dword v[8:9], v10, off offset:3840
	v_add_u32_e32 v1, 0x1200, v30
	s_movk_i32 s0, 0x1000
	ds_read2_b32 v[6:7], v1 offset0:48 offset1:168
	v_add_co_u32_e32 v4, vcc, s0, v8
	v_add_u32_e32 v1, 0x1600, v30
	s_nop 0
	v_addc_co_u32_e32 v5, vcc, 0, v9, vcc
	ds_read2_b32 v[8:9], v1 offset0:32 offset1:152
	v_add_u32_e32 v1, 0x1a00, v30
	s_movk_i32 s0, 0x77
	global_store_dword v[4:5], v11, off offset:224
	ds_read2_b32 v[10:11], v1 offset0:16 offset1:136
	v_cmp_eq_u32_e32 vcc, s0, v0
	s_waitcnt lgkmcnt(2)
	global_store_dword v[4:5], v6, off offset:704
	global_store_dword v[4:5], v7, off offset:1184
	s_waitcnt lgkmcnt(1)
	global_store_dword v[4:5], v8, off offset:1664
	global_store_dword v[4:5], v9, off offset:2144
	;; [unrolled: 3-line block ×3, first 2 shown]
	s_and_b64 exec, exec, vcc
	s_cbranch_execz .LBB0_26
; %bb.25:
	ds_read_b32 v4, v30 offset:7204
	v_add_co_u32_e32 v0, vcc, 0x1000, v2
	s_nop 1
	v_addc_co_u32_e32 v1, vcc, 0, v3, vcc
	s_waitcnt lgkmcnt(0)
	global_store_dword v[0:1], v4, off offset:3584
.LBB0_26:
	s_endpgm
	.section	.rodata,"a",@progbits
	.p2align	6, 0x0
	.amdhsa_kernel fft_rtc_back_len1920_factors_10_6_16_2_wgs_240_tpt_120_halfLds_half_ip_CI_unitstride_sbrr_R2C_dirReg
		.amdhsa_group_segment_fixed_size 0
		.amdhsa_private_segment_fixed_size 0
		.amdhsa_kernarg_size 88
		.amdhsa_user_sgpr_count 2
		.amdhsa_user_sgpr_dispatch_ptr 0
		.amdhsa_user_sgpr_queue_ptr 0
		.amdhsa_user_sgpr_kernarg_segment_ptr 1
		.amdhsa_user_sgpr_dispatch_id 0
		.amdhsa_user_sgpr_kernarg_preload_length 0
		.amdhsa_user_sgpr_kernarg_preload_offset 0
		.amdhsa_user_sgpr_private_segment_size 0
		.amdhsa_uses_dynamic_stack 0
		.amdhsa_enable_private_segment 0
		.amdhsa_system_sgpr_workgroup_id_x 1
		.amdhsa_system_sgpr_workgroup_id_y 0
		.amdhsa_system_sgpr_workgroup_id_z 0
		.amdhsa_system_sgpr_workgroup_info 0
		.amdhsa_system_vgpr_workitem_id 0
		.amdhsa_next_free_vgpr 79
		.amdhsa_next_free_sgpr 22
		.amdhsa_accum_offset 80
		.amdhsa_reserve_vcc 1
		.amdhsa_float_round_mode_32 0
		.amdhsa_float_round_mode_16_64 0
		.amdhsa_float_denorm_mode_32 3
		.amdhsa_float_denorm_mode_16_64 3
		.amdhsa_dx10_clamp 1
		.amdhsa_ieee_mode 1
		.amdhsa_fp16_overflow 0
		.amdhsa_tg_split 0
		.amdhsa_exception_fp_ieee_invalid_op 0
		.amdhsa_exception_fp_denorm_src 0
		.amdhsa_exception_fp_ieee_div_zero 0
		.amdhsa_exception_fp_ieee_overflow 0
		.amdhsa_exception_fp_ieee_underflow 0
		.amdhsa_exception_fp_ieee_inexact 0
		.amdhsa_exception_int_div_zero 0
	.end_amdhsa_kernel
	.text
.Lfunc_end0:
	.size	fft_rtc_back_len1920_factors_10_6_16_2_wgs_240_tpt_120_halfLds_half_ip_CI_unitstride_sbrr_R2C_dirReg, .Lfunc_end0-fft_rtc_back_len1920_factors_10_6_16_2_wgs_240_tpt_120_halfLds_half_ip_CI_unitstride_sbrr_R2C_dirReg
                                        ; -- End function
	.section	.AMDGPU.csdata,"",@progbits
; Kernel info:
; codeLenInByte = 10844
; NumSgprs: 28
; NumVgprs: 79
; NumAgprs: 0
; TotalNumVgprs: 79
; ScratchSize: 0
; MemoryBound: 0
; FloatMode: 240
; IeeeMode: 1
; LDSByteSize: 0 bytes/workgroup (compile time only)
; SGPRBlocks: 3
; VGPRBlocks: 9
; NumSGPRsForWavesPerEU: 28
; NumVGPRsForWavesPerEU: 79
; AccumOffset: 80
; Occupancy: 6
; WaveLimiterHint : 1
; COMPUTE_PGM_RSRC2:SCRATCH_EN: 0
; COMPUTE_PGM_RSRC2:USER_SGPR: 2
; COMPUTE_PGM_RSRC2:TRAP_HANDLER: 0
; COMPUTE_PGM_RSRC2:TGID_X_EN: 1
; COMPUTE_PGM_RSRC2:TGID_Y_EN: 0
; COMPUTE_PGM_RSRC2:TGID_Z_EN: 0
; COMPUTE_PGM_RSRC2:TIDIG_COMP_CNT: 0
; COMPUTE_PGM_RSRC3_GFX90A:ACCUM_OFFSET: 19
; COMPUTE_PGM_RSRC3_GFX90A:TG_SPLIT: 0
	.text
	.p2alignl 6, 3212836864
	.fill 256, 4, 3212836864
	.type	__hip_cuid_9e35717d306222ca,@object ; @__hip_cuid_9e35717d306222ca
	.section	.bss,"aw",@nobits
	.globl	__hip_cuid_9e35717d306222ca
__hip_cuid_9e35717d306222ca:
	.byte	0                               ; 0x0
	.size	__hip_cuid_9e35717d306222ca, 1

	.ident	"AMD clang version 19.0.0git (https://github.com/RadeonOpenCompute/llvm-project roc-6.4.0 25133 c7fe45cf4b819c5991fe208aaa96edf142730f1d)"
	.section	".note.GNU-stack","",@progbits
	.addrsig
	.addrsig_sym __hip_cuid_9e35717d306222ca
	.amdgpu_metadata
---
amdhsa.kernels:
  - .agpr_count:     0
    .args:
      - .actual_access:  read_only
        .address_space:  global
        .offset:         0
        .size:           8
        .value_kind:     global_buffer
      - .offset:         8
        .size:           8
        .value_kind:     by_value
      - .actual_access:  read_only
        .address_space:  global
        .offset:         16
        .size:           8
        .value_kind:     global_buffer
      - .actual_access:  read_only
        .address_space:  global
        .offset:         24
        .size:           8
        .value_kind:     global_buffer
      - .offset:         32
        .size:           8
        .value_kind:     by_value
      - .actual_access:  read_only
        .address_space:  global
        .offset:         40
        .size:           8
        .value_kind:     global_buffer
      - .actual_access:  read_only
        .address_space:  global
        .offset:         48
        .size:           8
        .value_kind:     global_buffer
      - .offset:         56
        .size:           4
        .value_kind:     by_value
      - .actual_access:  read_only
        .address_space:  global
        .offset:         64
        .size:           8
        .value_kind:     global_buffer
      - .actual_access:  read_only
        .address_space:  global
        .offset:         72
        .size:           8
        .value_kind:     global_buffer
      - .address_space:  global
        .offset:         80
        .size:           8
        .value_kind:     global_buffer
    .group_segment_fixed_size: 0
    .kernarg_segment_align: 8
    .kernarg_segment_size: 88
    .language:       OpenCL C
    .language_version:
      - 2
      - 0
    .max_flat_workgroup_size: 240
    .name:           fft_rtc_back_len1920_factors_10_6_16_2_wgs_240_tpt_120_halfLds_half_ip_CI_unitstride_sbrr_R2C_dirReg
    .private_segment_fixed_size: 0
    .sgpr_count:     28
    .sgpr_spill_count: 0
    .symbol:         fft_rtc_back_len1920_factors_10_6_16_2_wgs_240_tpt_120_halfLds_half_ip_CI_unitstride_sbrr_R2C_dirReg.kd
    .uniform_work_group_size: 1
    .uses_dynamic_stack: false
    .vgpr_count:     79
    .vgpr_spill_count: 0
    .wavefront_size: 64
amdhsa.target:   amdgcn-amd-amdhsa--gfx950
amdhsa.version:
  - 1
  - 2
...

	.end_amdgpu_metadata
